;; amdgpu-corpus repo=llvm/llvm-project kind=harvested arch=n/a opt=n/a
// RUN: llvm-mc -triple=amdgcn -mcpu=gfx1170 -show-encoding %s | FileCheck --check-prefixes=GFX1170 %s

v_dot4_f32_fp8_bf8 v0, v1, v2, v3 dpp8:[0,1,2,3,4,5,6,7]
// GFX1170: v_dot4_f32_fp8_bf8_e64_dpp v0, v1, v2, v3 dpp8:[0,1,2,3,4,5,6,7] ; encoding: [0x00,0x40,0x24,0xcc,0xe9,0x04,0x0e,0x1c,0x01,0x88,0xc6,0xfa]

v_dot4_f32_fp8_bf8 v0, v1, v2, v3 dpp8:[0,1,2,3,4,5,6,7] fi:1
// GFX1170: v_dot4_f32_fp8_bf8_e64_dpp v0, v1, v2, v3 dpp8:[0,1,2,3,4,5,6,7] fi:1 ; encoding: [0x00,0x40,0x24,0xcc,0xea,0x04,0x0e,0x1c,0x01,0x88,0xc6,0xfa]

v_dot4_f32_bf8_fp8 v0, v1, v2, v3 dpp8:[0,1,2,3,4,5,6,7]
// GFX1170: v_dot4_f32_bf8_fp8_e64_dpp v0, v1, v2, v3 dpp8:[0,1,2,3,4,5,6,7] ; encoding: [0x00,0x40,0x25,0xcc,0xe9,0x04,0x0e,0x1c,0x01,0x88,0xc6,0xfa]

v_dot4_f32_bf8_fp8 v0, v1, v2, v3 dpp8:[0,1,2,3,4,5,6,7] fi:1
// GFX1170: v_dot4_f32_bf8_fp8_e64_dpp v0, v1, v2, v3 dpp8:[0,1,2,3,4,5,6,7] fi:1 ; encoding: [0x00,0x40,0x25,0xcc,0xea,0x04,0x0e,0x1c,0x01,0x88,0xc6,0xfa]

v_dot4_f32_fp8_fp8 v0, v1, v2, v3 dpp8:[0,1,2,3,4,5,6,7]
// GFX1170: v_dot4_f32_fp8_fp8_e64_dpp v0, v1, v2, v3 dpp8:[0,1,2,3,4,5,6,7] ; encoding: [0x00,0x40,0x26,0xcc,0xe9,0x04,0x0e,0x1c,0x01,0x88,0xc6,0xfa]

v_dot4_f32_fp8_fp8 v0, v1, v2, v3 dpp8:[0,1,2,3,4,5,6,7] fi:1
// GFX1170: v_dot4_f32_fp8_fp8_e64_dpp v0, v1, v2, v3 dpp8:[0,1,2,3,4,5,6,7] fi:1 ; encoding: [0x00,0x40,0x26,0xcc,0xea,0x04,0x0e,0x1c,0x01,0x88,0xc6,0xfa]

v_dot4_f32_bf8_bf8 v0, v1, v2, v3 dpp8:[0,1,2,3,4,5,6,7]
// GFX1170: v_dot4_f32_bf8_bf8_e64_dpp v0, v1, v2, v3 dpp8:[0,1,2,3,4,5,6,7] ; encoding: [0x00,0x40,0x27,0xcc,0xe9,0x04,0x0e,0x1c,0x01,0x88,0xc6,0xfa]

v_dot4_f32_bf8_bf8 v0, v1, v2, v3 dpp8:[0,1,2,3,4,5,6,7] fi:1
// GFX1170: v_dot4_f32_bf8_bf8_e64_dpp v0, v1, v2, v3 dpp8:[0,1,2,3,4,5,6,7] fi:1 ; encoding: [0x00,0x40,0x27,0xcc,0xea,0x04,0x0e,0x1c,0x01,0x88,0xc6,0xfa]
